;; amdgpu-corpus repo=ROCm/rocFFT kind=compiled arch=gfx906 opt=O3
	.text
	.amdgcn_target "amdgcn-amd-amdhsa--gfx906"
	.amdhsa_code_object_version 6
	.protected	fft_rtc_fwd_len1485_factors_3_5_11_3_3_wgs_165_tpt_165_sp_op_CI_CI_unitstride_sbrr_dirReg ; -- Begin function fft_rtc_fwd_len1485_factors_3_5_11_3_3_wgs_165_tpt_165_sp_op_CI_CI_unitstride_sbrr_dirReg
	.globl	fft_rtc_fwd_len1485_factors_3_5_11_3_3_wgs_165_tpt_165_sp_op_CI_CI_unitstride_sbrr_dirReg
	.p2align	8
	.type	fft_rtc_fwd_len1485_factors_3_5_11_3_3_wgs_165_tpt_165_sp_op_CI_CI_unitstride_sbrr_dirReg,@function
fft_rtc_fwd_len1485_factors_3_5_11_3_3_wgs_165_tpt_165_sp_op_CI_CI_unitstride_sbrr_dirReg: ; @fft_rtc_fwd_len1485_factors_3_5_11_3_3_wgs_165_tpt_165_sp_op_CI_CI_unitstride_sbrr_dirReg
; %bb.0:
	s_load_dwordx4 s[8:11], s[4:5], 0x58
	s_load_dwordx4 s[12:15], s[4:5], 0x0
	;; [unrolled: 1-line block ×3, first 2 shown]
	v_mul_u32_u24_e32 v1, 0x18e, v0
	v_mov_b32_e32 v4, 0
	v_mov_b32_e32 v2, 0
	s_waitcnt lgkmcnt(0)
	v_cmp_lt_u64_e64 s[0:1], s[14:15], 2
	v_add_u32_sdwa v6, s6, v1 dst_sel:DWORD dst_unused:UNUSED_PAD src0_sel:DWORD src1_sel:WORD_1
	v_mov_b32_e32 v7, v4
	s_and_b64 vcc, exec, s[0:1]
	v_mov_b32_e32 v3, 0
	s_cbranch_vccnz .LBB0_8
; %bb.1:
	s_load_dwordx2 s[0:1], s[4:5], 0x10
	s_add_u32 s2, s18, 8
	s_addc_u32 s3, s19, 0
	s_add_u32 s6, s16, 8
	v_mov_b32_e32 v2, 0
	s_addc_u32 s7, s17, 0
	v_mov_b32_e32 v3, 0
	s_waitcnt lgkmcnt(0)
	s_add_u32 s20, s0, 8
	v_mov_b32_e32 v21, v3
	s_addc_u32 s21, s1, 0
	s_mov_b64 s[22:23], 1
	v_mov_b32_e32 v20, v2
.LBB0_2:                                ; =>This Inner Loop Header: Depth=1
	s_load_dwordx2 s[24:25], s[20:21], 0x0
                                        ; implicit-def: $vgpr22_vgpr23
	s_waitcnt lgkmcnt(0)
	v_or_b32_e32 v5, s25, v7
	v_cmp_ne_u64_e32 vcc, 0, v[4:5]
	s_and_saveexec_b64 s[0:1], vcc
	s_xor_b64 s[26:27], exec, s[0:1]
	s_cbranch_execz .LBB0_4
; %bb.3:                                ;   in Loop: Header=BB0_2 Depth=1
	v_cvt_f32_u32_e32 v1, s24
	v_cvt_f32_u32_e32 v5, s25
	s_sub_u32 s0, 0, s24
	s_subb_u32 s1, 0, s25
	v_mac_f32_e32 v1, 0x4f800000, v5
	v_rcp_f32_e32 v1, v1
	v_mul_f32_e32 v1, 0x5f7ffffc, v1
	v_mul_f32_e32 v5, 0x2f800000, v1
	v_trunc_f32_e32 v5, v5
	v_mac_f32_e32 v1, 0xcf800000, v5
	v_cvt_u32_f32_e32 v5, v5
	v_cvt_u32_f32_e32 v1, v1
	v_mul_lo_u32 v8, s0, v5
	v_mul_hi_u32 v9, s0, v1
	v_mul_lo_u32 v11, s1, v1
	v_mul_lo_u32 v10, s0, v1
	v_add_u32_e32 v8, v9, v8
	v_add_u32_e32 v8, v8, v11
	v_mul_hi_u32 v9, v1, v10
	v_mul_lo_u32 v11, v1, v8
	v_mul_hi_u32 v13, v1, v8
	v_mul_hi_u32 v12, v5, v10
	v_mul_lo_u32 v10, v5, v10
	v_mul_hi_u32 v14, v5, v8
	v_add_co_u32_e32 v9, vcc, v9, v11
	v_addc_co_u32_e32 v11, vcc, 0, v13, vcc
	v_mul_lo_u32 v8, v5, v8
	v_add_co_u32_e32 v9, vcc, v9, v10
	v_addc_co_u32_e32 v9, vcc, v11, v12, vcc
	v_addc_co_u32_e32 v10, vcc, 0, v14, vcc
	v_add_co_u32_e32 v8, vcc, v9, v8
	v_addc_co_u32_e32 v9, vcc, 0, v10, vcc
	v_add_co_u32_e32 v1, vcc, v1, v8
	v_addc_co_u32_e32 v5, vcc, v5, v9, vcc
	v_mul_lo_u32 v8, s0, v5
	v_mul_hi_u32 v9, s0, v1
	v_mul_lo_u32 v10, s1, v1
	v_mul_lo_u32 v11, s0, v1
	v_add_u32_e32 v8, v9, v8
	v_add_u32_e32 v8, v8, v10
	v_mul_lo_u32 v12, v1, v8
	v_mul_hi_u32 v13, v1, v11
	v_mul_hi_u32 v14, v1, v8
	v_mul_hi_u32 v10, v5, v11
	v_mul_lo_u32 v11, v5, v11
	v_mul_hi_u32 v9, v5, v8
	v_add_co_u32_e32 v12, vcc, v13, v12
	v_addc_co_u32_e32 v13, vcc, 0, v14, vcc
	v_mul_lo_u32 v8, v5, v8
	v_add_co_u32_e32 v11, vcc, v12, v11
	v_addc_co_u32_e32 v10, vcc, v13, v10, vcc
	v_addc_co_u32_e32 v9, vcc, 0, v9, vcc
	v_add_co_u32_e32 v8, vcc, v10, v8
	v_addc_co_u32_e32 v9, vcc, 0, v9, vcc
	v_add_co_u32_e32 v1, vcc, v1, v8
	v_addc_co_u32_e32 v5, vcc, v5, v9, vcc
	v_mad_u64_u32 v[8:9], s[0:1], v6, v5, 0
	v_mul_hi_u32 v10, v6, v1
	v_add_co_u32_e32 v12, vcc, v10, v8
	v_addc_co_u32_e32 v13, vcc, 0, v9, vcc
	v_mad_u64_u32 v[8:9], s[0:1], v7, v1, 0
	v_mad_u64_u32 v[10:11], s[0:1], v7, v5, 0
	v_add_co_u32_e32 v1, vcc, v12, v8
	v_addc_co_u32_e32 v1, vcc, v13, v9, vcc
	v_addc_co_u32_e32 v5, vcc, 0, v11, vcc
	v_add_co_u32_e32 v1, vcc, v1, v10
	v_addc_co_u32_e32 v5, vcc, 0, v5, vcc
	v_mul_lo_u32 v10, s25, v1
	v_mul_lo_u32 v11, s24, v5
	v_mad_u64_u32 v[8:9], s[0:1], s24, v1, 0
	v_add3_u32 v9, v9, v11, v10
	v_sub_u32_e32 v10, v7, v9
	v_mov_b32_e32 v11, s25
	v_sub_co_u32_e32 v8, vcc, v6, v8
	v_subb_co_u32_e64 v10, s[0:1], v10, v11, vcc
	v_subrev_co_u32_e64 v11, s[0:1], s24, v8
	v_subbrev_co_u32_e64 v10, s[0:1], 0, v10, s[0:1]
	v_cmp_le_u32_e64 s[0:1], s25, v10
	v_cndmask_b32_e64 v12, 0, -1, s[0:1]
	v_cmp_le_u32_e64 s[0:1], s24, v11
	v_cndmask_b32_e64 v11, 0, -1, s[0:1]
	v_cmp_eq_u32_e64 s[0:1], s25, v10
	v_cndmask_b32_e64 v10, v12, v11, s[0:1]
	v_add_co_u32_e64 v11, s[0:1], 2, v1
	v_addc_co_u32_e64 v12, s[0:1], 0, v5, s[0:1]
	v_add_co_u32_e64 v13, s[0:1], 1, v1
	v_addc_co_u32_e64 v14, s[0:1], 0, v5, s[0:1]
	v_subb_co_u32_e32 v9, vcc, v7, v9, vcc
	v_cmp_ne_u32_e64 s[0:1], 0, v10
	v_cmp_le_u32_e32 vcc, s25, v9
	v_cndmask_b32_e64 v10, v14, v12, s[0:1]
	v_cndmask_b32_e64 v12, 0, -1, vcc
	v_cmp_le_u32_e32 vcc, s24, v8
	v_cndmask_b32_e64 v8, 0, -1, vcc
	v_cmp_eq_u32_e32 vcc, s25, v9
	v_cndmask_b32_e32 v8, v12, v8, vcc
	v_cmp_ne_u32_e32 vcc, 0, v8
	v_cndmask_b32_e32 v23, v5, v10, vcc
	v_cndmask_b32_e64 v5, v13, v11, s[0:1]
	v_cndmask_b32_e32 v22, v1, v5, vcc
.LBB0_4:                                ;   in Loop: Header=BB0_2 Depth=1
	s_andn2_saveexec_b64 s[0:1], s[26:27]
	s_cbranch_execz .LBB0_6
; %bb.5:                                ;   in Loop: Header=BB0_2 Depth=1
	v_cvt_f32_u32_e32 v1, s24
	s_sub_i32 s26, 0, s24
	v_mov_b32_e32 v23, v4
	v_rcp_iflag_f32_e32 v1, v1
	v_mul_f32_e32 v1, 0x4f7ffffe, v1
	v_cvt_u32_f32_e32 v1, v1
	v_mul_lo_u32 v5, s26, v1
	v_mul_hi_u32 v5, v1, v5
	v_add_u32_e32 v1, v1, v5
	v_mul_hi_u32 v1, v6, v1
	v_mul_lo_u32 v5, v1, s24
	v_add_u32_e32 v8, 1, v1
	v_sub_u32_e32 v5, v6, v5
	v_subrev_u32_e32 v9, s24, v5
	v_cmp_le_u32_e32 vcc, s24, v5
	v_cndmask_b32_e32 v5, v5, v9, vcc
	v_cndmask_b32_e32 v1, v1, v8, vcc
	v_add_u32_e32 v8, 1, v1
	v_cmp_le_u32_e32 vcc, s24, v5
	v_cndmask_b32_e32 v22, v1, v8, vcc
.LBB0_6:                                ;   in Loop: Header=BB0_2 Depth=1
	s_or_b64 exec, exec, s[0:1]
	v_mul_lo_u32 v1, v23, s24
	v_mul_lo_u32 v5, v22, s25
	v_mad_u64_u32 v[8:9], s[0:1], v22, s24, 0
	s_load_dwordx2 s[0:1], s[6:7], 0x0
	s_load_dwordx2 s[24:25], s[2:3], 0x0
	v_add3_u32 v1, v9, v5, v1
	v_sub_co_u32_e32 v5, vcc, v6, v8
	v_subb_co_u32_e32 v1, vcc, v7, v1, vcc
	s_waitcnt lgkmcnt(0)
	v_mul_lo_u32 v6, s0, v1
	v_mul_lo_u32 v7, s1, v5
	v_mad_u64_u32 v[2:3], s[0:1], s0, v5, v[2:3]
	s_add_u32 s22, s22, 1
	s_addc_u32 s23, s23, 0
	s_add_u32 s2, s2, 8
	v_mul_lo_u32 v1, s24, v1
	v_mul_lo_u32 v8, s25, v5
	v_mad_u64_u32 v[20:21], s[0:1], s24, v5, v[20:21]
	v_add3_u32 v3, v7, v3, v6
	s_addc_u32 s3, s3, 0
	v_mov_b32_e32 v5, s14
	s_add_u32 s6, s6, 8
	v_mov_b32_e32 v6, s15
	s_addc_u32 s7, s7, 0
	v_cmp_ge_u64_e32 vcc, s[22:23], v[5:6]
	s_add_u32 s20, s20, 8
	v_add3_u32 v21, v8, v21, v1
	s_addc_u32 s21, s21, 0
	s_cbranch_vccnz .LBB0_9
; %bb.7:                                ;   in Loop: Header=BB0_2 Depth=1
	v_mov_b32_e32 v6, v22
	v_mov_b32_e32 v7, v23
	s_branch .LBB0_2
.LBB0_8:
	v_mov_b32_e32 v21, v3
	v_mov_b32_e32 v23, v7
	;; [unrolled: 1-line block ×4, first 2 shown]
.LBB0_9:
	s_load_dwordx2 s[4:5], s[4:5], 0x28
	s_lshl_b64 s[6:7], s[14:15], 3
	s_add_u32 s2, s18, s6
	s_addc_u32 s3, s19, s7
                                        ; implicit-def: $vgpr26
	s_waitcnt lgkmcnt(0)
	v_cmp_gt_u64_e64 s[0:1], s[4:5], v[22:23]
	v_cmp_le_u64_e32 vcc, s[4:5], v[22:23]
	s_and_saveexec_b64 s[4:5], vcc
	s_xor_b64 s[4:5], exec, s[4:5]
; %bb.10:
	s_mov_b32 s14, 0x18d3019
	v_mul_hi_u32 v1, v0, s14
                                        ; implicit-def: $vgpr2_vgpr3
	v_mul_u32_u24_e32 v1, 0xa5, v1
	v_sub_u32_e32 v26, v0, v1
                                        ; implicit-def: $vgpr0
; %bb.11:
	s_or_saveexec_b64 s[4:5], s[4:5]
                                        ; implicit-def: $vgpr10
                                        ; implicit-def: $vgpr18
                                        ; implicit-def: $vgpr16
                                        ; implicit-def: $vgpr1
                                        ; implicit-def: $vgpr6
                                        ; implicit-def: $vgpr14
                                        ; implicit-def: $vgpr12
                                        ; implicit-def: $vgpr8
                                        ; implicit-def: $vgpr4
	s_xor_b64 exec, exec, s[4:5]
	s_cbranch_execz .LBB0_13
; %bb.12:
	s_add_u32 s6, s16, s6
	s_addc_u32 s7, s17, s7
	s_load_dwordx2 s[6:7], s[6:7], 0x0
	s_mov_b32 s14, 0x18d3019
	v_mul_hi_u32 v1, v0, s14
	s_waitcnt lgkmcnt(0)
	v_mul_lo_u32 v6, s7, v22
	v_mul_lo_u32 v7, s6, v23
	v_mad_u64_u32 v[4:5], s[6:7], s6, v22, 0
	v_mul_u32_u24_e32 v1, 0xa5, v1
	v_sub_u32_e32 v26, v0, v1
	v_add3_u32 v5, v5, v7, v6
	v_lshlrev_b64 v[0:1], 3, v[4:5]
	v_mov_b32_e32 v4, s9
	v_add_co_u32_e32 v5, vcc, s8, v0
	v_addc_co_u32_e32 v4, vcc, v4, v1, vcc
	v_lshlrev_b64 v[0:1], 3, v[2:3]
	v_lshlrev_b32_e32 v2, 3, v26
	v_add_co_u32_e32 v0, vcc, v5, v0
	v_addc_co_u32_e32 v1, vcc, v4, v1, vcc
	v_add_co_u32_e32 v24, vcc, v0, v2
	v_addc_co_u32_e32 v25, vcc, 0, v1, vcc
	s_movk_i32 s6, 0x1000
	v_add_co_u32_e32 v27, vcc, s6, v24
	v_addc_co_u32_e32 v28, vcc, 0, v25, vcc
	v_add_co_u32_e32 v29, vcc, 0x2000, v24
	v_addc_co_u32_e32 v30, vcc, 0, v25, vcc
	global_load_dwordx2 v[5:6], v[27:28], off offset:1184
	global_load_dwordx2 v[13:14], v[29:30], off offset:1048
	;; [unrolled: 1-line block ×5, first 2 shown]
	global_load_dwordx2 v[9:10], v[24:25], off
	global_load_dwordx2 v[17:18], v[24:25], off offset:3960
	global_load_dwordx2 v[3:4], v[24:25], off offset:2640
	;; [unrolled: 1-line block ×3, first 2 shown]
.LBB0_13:
	s_or_b64 exec, exec, s[4:5]
	s_waitcnt vmcnt(2)
	v_add_f32_e32 v2, v9, v17
	v_add_f32_e32 v24, v2, v15
	;; [unrolled: 1-line block ×5, first 2 shown]
	v_sub_f32_e32 v19, v18, v16
	v_add_f32_e32 v18, v18, v16
	s_waitcnt vmcnt(0)
	v_add_f32_e32 v16, v1, v6
	v_sub_f32_e32 v17, v17, v15
	v_add_f32_e32 v15, v0, v5
	v_add_f32_e32 v16, v16, v14
	;; [unrolled: 1-line block ×3, first 2 shown]
	v_sub_f32_e32 v28, v6, v14
	v_add_f32_e32 v14, v6, v14
	v_sub_f32_e32 v29, v5, v13
	v_add_f32_e32 v5, v7, v3
	v_add_f32_e32 v6, v8, v4
	v_fmac_f32_e32 v9, -0.5, v2
	v_fmac_f32_e32 v10, -0.5, v18
	v_add_f32_e32 v5, v11, v5
	v_add_f32_e32 v6, v12, v6
	;; [unrolled: 1-line block ×3, first 2 shown]
	v_sub_f32_e32 v31, v8, v12
	v_add_f32_e32 v8, v12, v8
	v_sub_f32_e32 v32, v7, v11
	v_mov_b32_e32 v11, v9
	v_mov_b32_e32 v12, v10
	v_fmac_f32_e32 v0, -0.5, v27
	v_fmac_f32_e32 v1, -0.5, v14
	v_add_f32_e32 v15, v15, v13
	v_fmac_f32_e32 v11, 0x3f5db3d7, v19
	v_fmac_f32_e32 v9, 0xbf5db3d7, v19
	;; [unrolled: 1-line block ×3, first 2 shown]
	v_mov_b32_e32 v13, v0
	v_mov_b32_e32 v14, v1
	v_fmac_f32_e32 v3, -0.5, v30
	v_fmac_f32_e32 v4, -0.5, v8
	v_mad_u32_u24 v2, v26, 24, 0
	v_fmac_f32_e32 v10, 0x3f5db3d7, v17
	v_fmac_f32_e32 v13, 0x3f5db3d7, v28
	s_load_dwordx2 s[2:3], s[2:3], 0x0
	v_fmac_f32_e32 v14, 0xbf5db3d7, v29
	v_mov_b32_e32 v7, v3
	v_mov_b32_e32 v8, v4
	ds_write2_b64 v2, v[24:25], v[11:12] offset1:1
	ds_write_b64 v2, v[9:10] offset:16
	v_add_u32_e32 v9, 0xf78, v2
	v_fmac_f32_e32 v0, 0xbf5db3d7, v28
	v_fmac_f32_e32 v1, 0x3f5db3d7, v29
	;; [unrolled: 1-line block ×4, first 2 shown]
	ds_write2_b64 v9, v[15:16], v[13:14] offset1:1
	ds_write_b64 v2, v[0:1] offset:3976
	v_add_u32_e32 v9, 0x1ef0, v2
	v_fmac_f32_e32 v3, 0xbf5db3d7, v31
	v_fmac_f32_e32 v4, 0x3f5db3d7, v32
	ds_write2_b64 v9, v[5:6], v[7:8] offset1:1
	ds_write_b64 v2, v[3:4] offset:7936
	v_lshlrev_b32_e32 v9, 4, v26
	v_sub_u32_e32 v18, v2, v9
	s_waitcnt lgkmcnt(0)
	s_barrier
	ds_read_b64 v[10:11], v18
	ds_read_b64 v[16:17], v18 offset:2376
	ds_read_b64 v[14:15], v18 offset:4752
	;; [unrolled: 1-line block ×4, first 2 shown]
	v_sub_u32_e32 v9, 0, v9
	s_movk_i32 s4, 0x84
	v_add_u32_e32 v27, v2, v9
	v_cmp_gt_u32_e32 vcc, s4, v26
                                        ; implicit-def: $vgpr25
	s_and_saveexec_b64 s[4:5], vcc
	s_cbranch_execz .LBB0_15
; %bb.14:
	ds_read_b64 v[0:1], v27 offset:1320
	ds_read_b64 v[5:6], v27 offset:3696
	;; [unrolled: 1-line block ×5, first 2 shown]
.LBB0_15:
	s_or_b64 exec, exec, s[4:5]
	s_movk_i32 s4, 0xab
	v_mul_lo_u16_sdwa v2, v26, s4 dst_sel:DWORD dst_unused:UNUSED_PAD src0_sel:BYTE_0 src1_sel:DWORD
	v_lshrrev_b16_e32 v47, 9, v2
	v_mul_lo_u16_e32 v2, 3, v47
	v_sub_u16_e32 v48, v26, v2
	v_mov_b32_e32 v2, 5
	v_lshlrev_b32_sdwa v2, v2, v48 dst_sel:DWORD dst_unused:UNUSED_PAD src0_sel:DWORD src1_sel:BYTE_0
	v_add_u32_e32 v28, 0xa5, v26
	s_mov_b32 s4, 0xaaab
	global_load_dwordx4 v[31:34], v2, s[12:13]
	global_load_dwordx4 v[35:38], v2, s[12:13] offset:16
	v_mul_u32_u24_sdwa v2, v28, s4 dst_sel:DWORD dst_unused:UNUSED_PAD src0_sel:WORD_0 src1_sel:DWORD
	v_lshrrev_b32_e32 v29, 17, v2
	v_mul_lo_u16_e32 v2, 3, v29
	v_sub_u16_e32 v30, v28, v2
	v_lshlrev_b32_e32 v2, 5, v30
	global_load_dwordx4 v[39:42], v2, s[12:13]
	global_load_dwordx4 v[43:46], v2, s[12:13] offset:16
	s_waitcnt vmcnt(0) lgkmcnt(0)
	s_barrier
	v_mul_f32_e32 v2, v32, v17
	v_mul_f32_e32 v9, v32, v16
	;; [unrolled: 1-line block ×5, first 2 shown]
	v_fma_f32 v14, v33, v14, -v32
	v_mul_f32_e32 v51, v6, v40
	v_mul_f32_e32 v40, v5, v40
	v_fmac_f32_e32 v34, v33, v15
	v_fma_f32 v15, v35, v12, -v49
	v_mul_f32_e32 v50, v38, v19
	v_mul_f32_e32 v38, v38, v18
	v_fmac_f32_e32 v40, v6, v39
	v_add_f32_e32 v6, v14, v15
	v_mul_f32_e32 v36, v36, v12
	v_fmac_f32_e32 v9, v31, v17
	v_fmac_f32_e32 v38, v37, v19
	v_fma_f32 v12, -0.5, v6, v10
	v_mul_f32_e32 v53, v4, v44
	v_mul_f32_e32 v44, v3, v44
	v_fma_f32 v2, v31, v16, -v2
	v_fmac_f32_e32 v36, v35, v13
	v_fma_f32 v16, v37, v18, -v50
	v_sub_f32_e32 v37, v9, v38
	v_mov_b32_e32 v6, v12
	v_fma_f32 v17, v5, v39, -v51
	v_fma_f32 v31, v3, v43, -v53
	v_fmac_f32_e32 v44, v4, v43
	v_sub_f32_e32 v3, v2, v14
	v_sub_f32_e32 v4, v16, v15
	;; [unrolled: 1-line block ×3, first 2 shown]
	v_fmac_f32_e32 v12, 0xbf737871, v37
	v_fmac_f32_e32 v6, 0x3f737871, v37
	v_mul_f32_e32 v52, v8, v42
	v_mul_f32_e32 v42, v7, v42
	v_add_f32_e32 v3, v3, v4
	v_fmac_f32_e32 v12, 0xbf167918, v39
	v_fmac_f32_e32 v6, 0x3f167918, v39
	v_mul_f32_e32 v54, v25, v46
	v_mul_f32_e32 v46, v24, v46
	v_fmac_f32_e32 v42, v8, v41
	v_sub_f32_e32 v8, v14, v2
	v_sub_f32_e32 v13, v15, v16
	v_add_f32_e32 v18, v34, v36
	v_fmac_f32_e32 v12, 0x3e9e377a, v3
	v_fmac_f32_e32 v6, 0x3e9e377a, v3
	v_add_f32_e32 v3, v9, v38
	v_fma_f32 v19, v7, v41, -v52
	v_fmac_f32_e32 v46, v25, v45
	v_sub_f32_e32 v25, v9, v34
	v_add_f32_e32 v35, v11, v9
	v_add_f32_e32 v41, v8, v13
	v_fma_f32 v13, -0.5, v18, v11
	v_fmac_f32_e32 v11, -0.5, v3
	v_sub_f32_e32 v3, v34, v9
	v_sub_f32_e32 v9, v36, v38
	v_add_f32_e32 v7, v2, v16
	v_sub_f32_e32 v33, v14, v15
	v_add_f32_e32 v3, v3, v9
	v_mov_b32_e32 v9, v11
	v_add_f32_e32 v5, v10, v2
	v_sub_f32_e32 v2, v2, v16
	v_fma_f32 v10, -0.5, v7, v10
	v_mov_b32_e32 v7, v13
	v_fmac_f32_e32 v9, 0x3f737871, v33
	v_fmac_f32_e32 v11, 0xbf737871, v33
	;; [unrolled: 1-line block ×6, first 2 shown]
	v_add_f32_e32 v2, v0, v17
	v_add_f32_e32 v2, v2, v19
	v_fma_f32 v24, v24, v45, -v54
	v_add_f32_e32 v2, v2, v31
	v_add_f32_e32 v4, v5, v14
	;; [unrolled: 1-line block ×5, first 2 shown]
	v_fmac_f32_e32 v9, 0x3e9e377a, v3
	v_fmac_f32_e32 v11, 0x3e9e377a, v3
	v_fma_f32 v2, -0.5, v2, v0
	v_sub_f32_e32 v3, v17, v19
	v_sub_f32_e32 v15, v24, v31
	;; [unrolled: 1-line block ×3, first 2 shown]
	v_add_f32_e32 v4, v4, v16
	v_add_f32_e32 v3, v3, v15
	v_sub_f32_e32 v15, v40, v46
	v_mov_b32_e32 v16, v2
	v_add_f32_e32 v18, v25, v32
	v_fmac_f32_e32 v16, 0x3f737871, v15
	v_sub_f32_e32 v25, v42, v44
	v_fmac_f32_e32 v2, 0xbf737871, v15
	v_fmac_f32_e32 v16, 0x3f167918, v25
	v_fmac_f32_e32 v2, 0xbf167918, v25
	v_fmac_f32_e32 v7, 0xbf167918, v33
	v_fmac_f32_e32 v13, 0x3f167918, v33
	v_fmac_f32_e32 v16, 0x3e9e377a, v3
	v_fmac_f32_e32 v2, 0x3e9e377a, v3
	v_add_f32_e32 v3, v17, v24
	v_fmac_f32_e32 v7, 0x3e9e377a, v18
	v_fmac_f32_e32 v13, 0x3e9e377a, v18
	v_fmac_f32_e32 v0, -0.5, v3
	v_sub_f32_e32 v3, v19, v17
	v_sub_f32_e32 v18, v31, v24
	v_add_f32_e32 v3, v3, v18
	v_mov_b32_e32 v18, v0
	v_fmac_f32_e32 v18, 0xbf737871, v25
	v_fmac_f32_e32 v0, 0x3f737871, v25
	;; [unrolled: 1-line block ×6, first 2 shown]
	v_add_f32_e32 v3, v1, v40
	v_add_f32_e32 v3, v3, v42
	;; [unrolled: 1-line block ×5, first 2 shown]
	v_fma_f32 v3, -0.5, v3, v1
	v_sub_f32_e32 v24, v17, v24
	v_sub_f32_e32 v25, v19, v31
	;; [unrolled: 1-line block ×4, first 2 shown]
	v_add_f32_e32 v19, v17, v19
	v_mov_b32_e32 v17, v3
	v_fmac_f32_e32 v17, 0xbf737871, v24
	v_fmac_f32_e32 v3, 0x3f737871, v24
	;; [unrolled: 1-line block ×6, first 2 shown]
	v_add_f32_e32 v19, v40, v46
	v_fmac_f32_e32 v1, -0.5, v19
	v_sub_f32_e32 v19, v42, v40
	v_sub_f32_e32 v31, v44, v46
	v_mov_b32_e32 v8, v10
	v_add_f32_e32 v31, v19, v31
	v_mov_b32_e32 v19, v1
	v_add_f32_e32 v5, v35, v34
	v_fmac_f32_e32 v10, 0x3f737871, v39
	v_fmac_f32_e32 v8, 0xbf737871, v39
	;; [unrolled: 1-line block ×4, first 2 shown]
	v_mov_b32_e32 v25, 3
	v_add_f32_e32 v5, v5, v36
	v_fmac_f32_e32 v10, 0xbf167918, v37
	v_fmac_f32_e32 v8, 0x3f167918, v37
	;; [unrolled: 1-line block ×4, first 2 shown]
	v_mul_u32_u24_e32 v24, 0x78, v47
	v_lshlrev_b32_sdwa v25, v25, v48 dst_sel:DWORD dst_unused:UNUSED_PAD src0_sel:DWORD src1_sel:BYTE_0
	v_add_f32_e32 v5, v5, v38
	v_fmac_f32_e32 v10, 0x3e9e377a, v41
	v_fmac_f32_e32 v8, 0x3e9e377a, v41
	v_fmac_f32_e32 v19, 0x3e9e377a, v31
	v_fmac_f32_e32 v1, 0x3e9e377a, v31
	v_add3_u32 v24, 0, v24, v25
	ds_write2_b64 v24, v[4:5], v[6:7] offset1:3
	ds_write2_b64 v24, v[8:9], v[10:11] offset0:6 offset1:9
	ds_write_b64 v24, v[12:13] offset:96
	s_and_saveexec_b64 s[4:5], vcc
	s_cbranch_execz .LBB0_17
; %bb.16:
	v_mul_lo_u16_e32 v24, 15, v29
	v_lshlrev_b32_e32 v25, 3, v30
	v_lshlrev_b32_e32 v24, 3, v24
	v_add3_u32 v24, 0, v25, v24
	ds_write2_b64 v24, v[14:15], v[16:17] offset1:3
	ds_write2_b64 v24, v[18:19], v[0:1] offset0:6 offset1:9
	ds_write_b64 v24, v[2:3] offset:96
.LBB0_17:
	s_or_b64 exec, exec, s[4:5]
	s_movk_i32 s4, 0x87
	v_cmp_gt_u32_e32 vcc, s4, v26
	s_waitcnt lgkmcnt(0)
	s_barrier
	s_waitcnt lgkmcnt(0)
                                        ; implicit-def: $vgpr25
	s_and_saveexec_b64 s[4:5], vcc
	s_cbranch_execz .LBB0_19
; %bb.18:
	v_add_u32_e32 v0, 0x800, v27
	ds_read2_b64 v[8:11], v0 offset0:14 offset1:149
	v_add_u32_e32 v0, 0x1000, v27
	ds_read2_b64 v[12:15], v0 offset0:28 offset1:163
	;; [unrolled: 2-line block ×3, first 2 shown]
	v_add_u32_e32 v0, 0x2000, v27
	ds_read2_b64 v[4:7], v27 offset1:135
	ds_read2_b64 v[0:3], v0 offset0:56 offset1:191
	ds_read_b64 v[24:25], v27 offset:10800
.LBB0_19:
	s_or_b64 exec, exec, s[4:5]
	s_waitcnt lgkmcnt(0)
	s_barrier
	s_and_saveexec_b64 s[4:5], vcc
	s_cbranch_execz .LBB0_21
; %bb.20:
	s_movk_i32 s6, 0x89
	v_mul_lo_u16_sdwa v29, v26, s6 dst_sel:DWORD dst_unused:UNUSED_PAD src0_sel:BYTE_0 src1_sel:DWORD
	v_lshrrev_b16_e32 v29, 11, v29
	v_mul_lo_u16_e32 v30, 15, v29
	v_sub_u16_e32 v30, v26, v30
	v_mov_b32_e32 v31, 10
	v_mul_u32_u24_sdwa v31, v30, v31 dst_sel:DWORD dst_unused:UNUSED_PAD src0_sel:BYTE_0 src1_sel:DWORD
	v_lshlrev_b32_e32 v31, 3, v31
	global_load_dwordx4 v[40:43], v31, s[12:13] offset:160
	global_load_dwordx4 v[44:47], v31, s[12:13] offset:96
	;; [unrolled: 1-line block ×5, first 2 shown]
	s_mov_b32 s14, 0xbe11bafb
	s_mov_b32 s8, 0x3ed4b147
	;; [unrolled: 1-line block ×5, first 2 shown]
	v_mul_u32_u24_e32 v29, 0x528, v29
	s_waitcnt vmcnt(4)
	v_mul_f32_e32 v60, v25, v43
	v_mul_f32_e32 v31, v24, v43
	v_mul_f32_e32 v43, v3, v41
	v_mul_f32_e32 v32, v2, v41
	s_waitcnt vmcnt(3)
	v_mul_f32_e32 v41, v7, v45
	v_mul_f32_e32 v45, v6, v45
	;; [unrolled: 1-line block ×4, first 2 shown]
	s_waitcnt vmcnt(2)
	v_mul_f32_e32 v47, v1, v51
	v_mul_f32_e32 v33, v0, v51
	s_waitcnt vmcnt(1)
	v_mul_f32_e32 v51, v11, v53
	v_fma_f32 v24, v24, v42, -v60
	v_fmac_f32_e32 v31, v25, v42
	v_fma_f32 v25, v6, v44, -v41
	v_mul_f32_e32 v36, v10, v53
	v_mul_f32_e32 v53, v19, v49
	;; [unrolled: 1-line block ×5, first 2 shown]
	s_waitcnt vmcnt(0)
	v_mul_f32_e32 v55, v17, v59
	v_fmac_f32_e32 v45, v7, v44
	v_fma_f32 v6, v10, v52, -v51
	v_sub_f32_e32 v10, v25, v24
	v_mul_f32_e32 v38, v16, v59
	v_mul_f32_e32 v59, v15, v57
	;; [unrolled: 1-line block ×3, first 2 shown]
	v_fmac_f32_e32 v32, v3, v40
	v_fma_f32 v3, v8, v46, -v61
	v_fmac_f32_e32 v36, v11, v52
	v_fma_f32 v8, v16, v58, -v55
	v_add_f32_e32 v11, v45, v31
	v_mul_f32_e32 v16, 0xbf7d64f0, v10
	v_fma_f32 v2, v2, v40, -v43
	v_fmac_f32_e32 v34, v9, v46
	v_fma_f32 v7, v12, v54, -v49
	v_fmac_f32_e32 v38, v17, v58
	;; [unrolled: 2-line block ×3, first 2 shown]
	v_sub_f32_e32 v12, v45, v31
	v_mul_f32_e32 v14, 0xbe903f40, v10
	v_mul_f32_e32 v15, 0xbf4178ce, v10
	;; [unrolled: 1-line block ×4, first 2 shown]
	v_mov_b32_e32 v44, v16
	v_fma_f32 v16, v11, s14, -v16
	v_fma_f32 v0, v0, v50, -v47
	v_fmac_f32_e32 v33, v1, v50
	v_fma_f32 v1, v18, v48, -v53
	v_fmac_f32_e32 v35, v19, v48
	v_fmac_f32_e32 v37, v13, v54
	v_add_f32_e32 v13, v25, v24
	v_mul_f32_e32 v18, 0xbe903f40, v12
	v_mul_f32_e32 v19, 0xbf4178ce, v12
	;; [unrolled: 1-line block ×5, first 2 shown]
	v_mov_b32_e32 v42, v14
	v_mov_b32_e32 v43, v15
	;; [unrolled: 1-line block ×3, first 2 shown]
	v_fma_f32 v17, v11, s8, -v17
	v_mov_b32_e32 v47, v10
	v_add_f32_e32 v54, v5, v16
	v_sub_f32_e32 v16, v3, v2
	v_fma_f32 v14, v11, s6, -v14
	v_fma_f32 v15, v11, s7, -v15
	;; [unrolled: 1-line block ×4, first 2 shown]
	v_fmac_f32_e32 v18, 0xbf75a155, v13
	v_fma_f32 v49, v13, s7, -v19
	v_fmac_f32_e32 v19, 0xbf27a4f4, v13
	v_fma_f32 v50, v13, s14, -v40
	v_fmac_f32_e32 v40, 0xbe11bafb, v13
	v_fmac_f32_e32 v42, 0xbf75a155, v11
	;; [unrolled: 1-line block ×6, first 2 shown]
	v_fma_f32 v11, v13, s8, -v41
	v_fmac_f32_e32 v41, 0x3ed4b147, v13
	v_fma_f32 v51, v13, s9, -v12
	v_fmac_f32_e32 v12, 0x3f575c64, v13
	v_add_f32_e32 v55, v5, v17
	v_mul_f32_e32 v58, 0x3f0a6770, v16
	v_sub_f32_e32 v17, v6, v0
	v_add_f32_e32 v13, v5, v42
	v_add_f32_e32 v42, v4, v48
	;; [unrolled: 1-line block ×13, first 2 shown]
	v_mov_b32_e32 v4, v58
	v_mul_f32_e32 v60, 0xbf4178ce, v17
	v_add_f32_e32 v43, v5, v43
	v_add_f32_e32 v44, v5, v44
	;; [unrolled: 1-line block ×8, first 2 shown]
	v_fmac_f32_e32 v4, 0x3f575c64, v59
	v_add_f32_e32 v61, v36, v33
	v_mov_b32_e32 v5, v60
	v_sub_f32_e32 v62, v7, v1
	v_add_f32_e32 v4, v4, v13
	v_fmac_f32_e32 v5, 0xbf27a4f4, v61
	v_mul_f32_e32 v63, 0x3f68dda4, v62
	v_add_f32_e32 v4, v5, v4
	v_add_f32_e32 v64, v37, v35
	v_mov_b32_e32 v5, v63
	v_sub_f32_e32 v66, v34, v32
	v_fmac_f32_e32 v5, 0x3ed4b147, v64
	v_add_f32_e32 v65, v3, v2
	v_mul_f32_e32 v67, 0x3f0a6770, v66
	v_add_f32_e32 v4, v5, v4
	v_fma_f32 v5, v65, s9, -v67
	v_sub_f32_e32 v68, v36, v33
	v_add_f32_e32 v5, v5, v42
	v_add_f32_e32 v42, v6, v0
	v_mul_f32_e32 v69, 0xbf4178ce, v68
	v_sub_f32_e32 v71, v37, v35
	v_fma_f32 v10, v42, s7, -v69
	v_add_f32_e32 v70, v7, v1
	v_mul_f32_e32 v72, 0x3f68dda4, v71
	v_sub_f32_e32 v73, v9, v8
	v_add_f32_e32 v5, v10, v5
	v_fma_f32 v10, v70, s8, -v72
	v_mul_f32_e32 v74, 0xbf7d64f0, v73
	v_add_f32_e32 v10, v10, v5
	v_add_f32_e32 v75, v39, v38
	v_mov_b32_e32 v5, v74
	v_sub_f32_e32 v77, v39, v38
	v_fmac_f32_e32 v5, 0xbe11bafb, v75
	v_add_f32_e32 v76, v9, v8
	v_mul_f32_e32 v78, 0xbf7d64f0, v77
	v_add_f32_e32 v5, v5, v4
	v_fma_f32 v4, v76, s14, -v78
	v_mul_f32_e32 v79, 0x3f7d64f0, v16
	v_add_f32_e32 v4, v4, v10
	v_mov_b32_e32 v10, v79
	v_fmac_f32_e32 v10, 0xbe11bafb, v59
	v_add_f32_e32 v10, v10, v43
	v_mul_f32_e32 v43, 0xbf0a6770, v17
	v_mov_b32_e32 v11, v43
	v_fmac_f32_e32 v11, 0x3f575c64, v61
	v_mul_f32_e32 v80, 0xbe903f40, v62
	v_add_f32_e32 v10, v11, v10
	v_mov_b32_e32 v11, v80
	v_fmac_f32_e32 v11, 0xbf75a155, v64
	v_mul_f32_e32 v81, 0x3f7d64f0, v66
	v_add_f32_e32 v10, v11, v10
	v_fma_f32 v11, v65, s14, -v81
	v_add_f32_e32 v11, v11, v48
	v_mul_f32_e32 v48, 0xbf0a6770, v68
	v_fma_f32 v12, v42, s9, -v48
	v_mul_f32_e32 v82, 0xbe903f40, v71
	v_add_f32_e32 v11, v12, v11
	v_fma_f32 v12, v70, s6, -v82
	v_mul_f32_e32 v83, 0x3f68dda4, v73
	v_add_f32_e32 v12, v12, v11
	v_mov_b32_e32 v11, v83
	v_fmac_f32_e32 v11, 0x3ed4b147, v75
	v_mul_f32_e32 v84, 0x3f68dda4, v77
	v_add_f32_e32 v11, v11, v10
	v_fma_f32 v10, v76, s8, -v84
	v_mul_f32_e32 v85, 0x3e903f40, v16
	v_add_f32_e32 v10, v10, v12
	v_mov_b32_e32 v12, v85
	v_fmac_f32_e32 v12, 0xbf75a155, v59
	v_add_f32_e32 v12, v12, v44
	v_mul_f32_e32 v44, 0x3f68dda4, v17
	v_mov_b32_e32 v13, v44
	v_fmac_f32_e32 v13, 0x3ed4b147, v61
	v_mul_f32_e32 v86, 0xbf0a6770, v62
	v_add_f32_e32 v12, v13, v12
	v_mov_b32_e32 v13, v86
	v_fmac_f32_e32 v13, 0x3f575c64, v64
	v_mul_f32_e32 v87, 0x3e903f40, v66
	v_add_f32_e32 v12, v13, v12
	v_fma_f32 v13, v65, s6, -v87
	v_add_f32_e32 v13, v13, v49
	v_mul_f32_e32 v49, 0x3f68dda4, v68
	v_add_f32_e32 v3, v25, v3
	v_fma_f32 v14, v42, s8, -v49
	v_mul_f32_e32 v88, 0xbf0a6770, v71
	v_add_f32_e32 v3, v3, v6
	v_add_f32_e32 v13, v14, v13
	v_fma_f32 v14, v70, s9, -v88
	v_mul_f32_e32 v89, 0xbf4178ce, v73
	v_add_f32_e32 v3, v3, v7
	v_add_f32_e32 v14, v14, v13
	v_mov_b32_e32 v13, v89
	v_add_f32_e32 v3, v3, v9
	v_fmac_f32_e32 v13, 0xbf27a4f4, v75
	v_mul_f32_e32 v90, 0xbf4178ce, v77
	v_add_f32_e32 v3, v3, v8
	v_add_f32_e32 v13, v13, v12
	v_fma_f32 v12, v76, s7, -v90
	v_mul_f32_e32 v91, 0xbf4178ce, v16
	v_add_f32_e32 v1, v3, v1
	v_add_f32_e32 v12, v12, v14
	v_mov_b32_e32 v14, v91
	v_add_f32_e32 v0, v1, v0
	v_fmac_f32_e32 v14, 0xbf27a4f4, v59
	v_add_f32_e32 v0, v0, v2
	v_fma_f32 v2, v59, s9, -v58
	v_add_f32_e32 v14, v14, v46
	v_mul_f32_e32 v46, 0x3e903f40, v17
	v_add_f32_e32 v2, v2, v52
	v_fma_f32 v3, v61, s7, -v60
	v_mov_b32_e32 v15, v46
	v_add_f32_e32 v2, v3, v2
	v_fma_f32 v3, v64, s8, -v63
	v_fmac_f32_e32 v67, 0x3f575c64, v65
	v_fmac_f32_e32 v15, 0xbf75a155, v61
	v_mul_f32_e32 v92, 0x3f7d64f0, v62
	v_add_f32_e32 v2, v3, v2
	v_add_f32_e32 v3, v67, v18
	v_fmac_f32_e32 v69, 0xbf27a4f4, v42
	v_add_f32_e32 v14, v15, v14
	v_mov_b32_e32 v15, v92
	v_add_f32_e32 v3, v69, v3
	v_fmac_f32_e32 v72, 0x3ed4b147, v70
	v_fmac_f32_e32 v15, 0xbe11bafb, v64
	v_mul_f32_e32 v93, 0xbf4178ce, v66
	v_add_f32_e32 v6, v72, v3
	v_fma_f32 v3, v75, s14, -v74
	v_fmac_f32_e32 v78, 0xbe11bafb, v76
	v_add_f32_e32 v14, v15, v14
	v_fma_f32 v15, v65, s7, -v93
	v_add_f32_e32 v3, v3, v2
	v_add_f32_e32 v2, v78, v6
	v_fma_f32 v6, v59, s14, -v79
	v_add_f32_e32 v15, v15, v50
	v_mul_f32_e32 v50, 0x3e903f40, v68
	v_add_f32_e32 v6, v6, v53
	v_fma_f32 v7, v61, s9, -v43
	v_fma_f32 v94, v42, s6, -v50
	v_add_f32_e32 v6, v7, v6
	v_fma_f32 v7, v64, s6, -v80
	v_fmac_f32_e32 v81, 0xbe11bafb, v65
	v_add_f32_e32 v15, v94, v15
	v_mul_f32_e32 v94, 0x3f7d64f0, v71
	v_add_f32_e32 v6, v7, v6
	v_add_f32_e32 v7, v81, v19
	v_fmac_f32_e32 v48, 0x3f575c64, v42
	v_fma_f32 v95, v70, s14, -v94
	v_mul_f32_e32 v96, 0x3f0a6770, v73
	v_add_f32_e32 v7, v48, v7
	v_fmac_f32_e32 v82, 0xbf75a155, v70
	v_add_f32_e32 v95, v95, v15
	v_mov_b32_e32 v15, v96
	v_add_f32_e32 v8, v82, v7
	v_fma_f32 v7, v75, s8, -v83
	v_fmac_f32_e32 v84, 0x3ed4b147, v76
	v_fmac_f32_e32 v15, 0x3f575c64, v75
	v_mul_f32_e32 v97, 0x3f0a6770, v77
	v_add_f32_e32 v7, v7, v6
	v_add_f32_e32 v6, v84, v8
	v_fma_f32 v8, v59, s6, -v85
	v_add_f32_e32 v15, v15, v14
	v_fma_f32 v14, v76, s9, -v97
	;; [unrolled: 2-line block ×3, first 2 shown]
	v_add_f32_e32 v14, v14, v95
	v_mul_f32_e32 v95, 0xbf68dda4, v16
	v_add_f32_e32 v8, v9, v8
	v_fma_f32 v9, v64, s9, -v86
	v_fmac_f32_e32 v87, 0xbf75a155, v65
	v_mov_b32_e32 v16, v95
	v_add_f32_e32 v8, v9, v8
	v_add_f32_e32 v9, v87, v40
	v_fmac_f32_e32 v49, 0x3ed4b147, v42
	v_fmac_f32_e32 v16, 0x3ed4b147, v59
	v_add_f32_e32 v9, v49, v9
	v_fmac_f32_e32 v88, 0x3f575c64, v70
	v_add_f32_e32 v16, v16, v47
	v_mul_f32_e32 v47, 0xbf7d64f0, v17
	v_add_f32_e32 v18, v88, v9
	v_fma_f32 v9, v75, s7, -v89
	v_fmac_f32_e32 v90, 0xbf27a4f4, v76
	v_mov_b32_e32 v17, v47
	v_add_f32_e32 v9, v9, v8
	v_add_f32_e32 v8, v90, v18
	v_fma_f32 v18, v59, s7, -v91
	v_fmac_f32_e32 v17, 0xbe11bafb, v61
	v_mul_f32_e32 v62, 0xbf4178ce, v62
	v_add_f32_e32 v18, v18, v55
	v_fma_f32 v19, v61, s6, -v46
	v_add_f32_e32 v16, v17, v16
	v_mov_b32_e32 v17, v62
	v_add_f32_e32 v34, v45, v34
	v_add_f32_e32 v18, v19, v18
	v_fma_f32 v19, v64, s14, -v92
	v_fmac_f32_e32 v93, 0xbf27a4f4, v65
	v_fmac_f32_e32 v17, 0xbf27a4f4, v64
	v_mul_f32_e32 v66, 0xbf68dda4, v66
	v_add_f32_e32 v34, v34, v36
	v_add_f32_e32 v18, v19, v18
	;; [unrolled: 1-line block ×3, first 2 shown]
	v_fmac_f32_e32 v50, 0xbf75a155, v42
	v_add_f32_e32 v16, v17, v16
	v_fma_f32 v17, v65, s8, -v66
	v_add_f32_e32 v34, v34, v37
	v_add_f32_e32 v19, v50, v19
	v_fmac_f32_e32 v94, 0xbe11bafb, v70
	v_add_f32_e32 v17, v17, v51
	v_mul_f32_e32 v51, 0xbf7d64f0, v68
	v_add_f32_e32 v34, v34, v39
	v_add_f32_e32 v0, v0, v24
	;; [unrolled: 1-line block ×3, first 2 shown]
	v_fma_f32 v19, v75, s9, -v96
	v_fmac_f32_e32 v97, 0x3f575c64, v76
	v_fma_f32 v68, v42, s14, -v51
	v_add_f32_e32 v34, v34, v38
	v_add_f32_e32 v19, v19, v18
	;; [unrolled: 1-line block ×3, first 2 shown]
	v_fma_f32 v24, v59, s8, -v95
	v_add_f32_e32 v17, v68, v17
	v_mul_f32_e32 v68, 0xbf4178ce, v71
	v_add_f32_e32 v34, v34, v35
	v_add_f32_e32 v24, v24, v56
	v_fma_f32 v25, v61, s14, -v47
	v_fma_f32 v71, v70, s7, -v68
	v_mul_f32_e32 v73, 0xbe903f40, v73
	v_add_f32_e32 v33, v34, v33
	v_add_f32_e32 v24, v25, v24
	v_fma_f32 v25, v64, s7, -v62
	v_add_f32_e32 v71, v71, v17
	v_mov_b32_e32 v17, v73
	v_add_f32_e32 v32, v33, v32
	v_add_f32_e32 v24, v25, v24
	v_fma_f32 v25, v75, s6, -v73
	v_fmac_f32_e32 v66, 0x3ed4b147, v65
	v_fmac_f32_e32 v17, 0xbf75a155, v75
	v_mul_f32_e32 v77, 0xbe903f40, v77
	v_add_f32_e32 v1, v32, v31
	v_add_f32_e32 v25, v25, v24
	;; [unrolled: 1-line block ×3, first 2 shown]
	v_fmac_f32_e32 v51, 0xbe11bafb, v42
	v_mov_b32_e32 v31, 3
	v_add_f32_e32 v17, v17, v16
	v_fma_f32 v16, v76, s6, -v77
	v_add_f32_e32 v24, v51, v24
	v_fmac_f32_e32 v68, 0xbf27a4f4, v70
	v_lshlrev_b32_sdwa v30, v31, v30 dst_sel:DWORD dst_unused:UNUSED_PAD src0_sel:DWORD src1_sel:BYTE_0
	v_add_f32_e32 v16, v16, v71
	v_add_f32_e32 v24, v68, v24
	v_fmac_f32_e32 v77, 0xbf75a155, v76
	v_add3_u32 v29, 0, v29, v30
	v_add_f32_e32 v24, v77, v24
	ds_write2_b64 v29, v[0:1], v[16:17] offset1:15
	ds_write2_b64 v29, v[14:15], v[12:13] offset0:30 offset1:45
	ds_write2_b64 v29, v[10:11], v[4:5] offset0:60 offset1:75
	;; [unrolled: 1-line block ×4, first 2 shown]
	ds_write_b64 v29, v[24:25] offset:1200
.LBB0_21:
	s_or_b64 exec, exec, s[4:5]
	v_lshlrev_b32_e32 v0, 1, v26
	v_mov_b32_e32 v1, 0
	v_lshlrev_b64 v[2:3], 3, v[0:1]
	v_mov_b32_e32 v0, s13
	v_add_co_u32_e32 v2, vcc, s12, v2
	v_addc_co_u32_e32 v3, vcc, v0, v3, vcc
	v_add_u32_e32 v0, 0x14a, v26
	s_mov_b32 s4, 0x8d31
	v_mul_u32_u24_sdwa v4, v0, s4 dst_sel:DWORD dst_unused:UNUSED_PAD src0_sel:WORD_0 src1_sel:DWORD
	v_sub_u16_sdwa v5, v0, v4 dst_sel:DWORD dst_unused:UNUSED_PAD src0_sel:DWORD src1_sel:WORD_1
	v_lshrrev_b16_e32 v5, 1, v5
	v_add_u16_sdwa v4, v5, v4 dst_sel:DWORD dst_unused:UNUSED_PAD src0_sel:DWORD src1_sel:WORD_1
	v_lshrrev_b16_e32 v4, 7, v4
	s_waitcnt lgkmcnt(0)
	s_barrier
	global_load_dwordx4 v[8:11], v[2:3], off offset:1296
	v_mul_lo_u16_e32 v4, 0xa5, v4
	v_sub_u16_e32 v41, v0, v4
	v_lshlrev_b32_e32 v4, 4, v41
	global_load_dwordx4 v[12:15], v4, s[12:13] offset:1296
	v_add_u32_e32 v4, 0xe00, v27
	ds_read_b64 v[24:25], v27
	v_add_u32_e32 v5, 0x1800, v27
	v_lshl_add_u32 v7, v26, 3, 0
	v_add_u32_e32 v6, 0x2400, v27
	ds_read2_b64 v[16:19], v4 offset0:47 offset1:212
	ds_read2_b64 v[29:32], v5 offset0:57 offset1:222
	v_add_u32_e32 v7, 0x400, v7
	ds_read2_b64 v[33:36], v6 offset0:3 offset1:168
	ds_read2_b64 v[37:40], v7 offset0:37 offset1:202
	s_waitcnt vmcnt(0) lgkmcnt(0)
	s_barrier
	v_mul_f32_e32 v42, v9, v17
	v_mul_f32_e32 v43, v9, v16
	;; [unrolled: 1-line block ×8, first 2 shown]
	v_fma_f32 v16, v8, v16, -v42
	v_fmac_f32_e32 v43, v8, v17
	v_fma_f32 v17, v10, v31, -v44
	v_fma_f32 v18, v8, v18, -v46
	v_fmac_f32_e32 v9, v8, v19
	v_fma_f32 v19, v10, v33, -v47
	v_fmac_f32_e32 v11, v10, v34
	v_fmac_f32_e32 v45, v10, v32
	v_add_f32_e32 v8, v24, v16
	v_add_f32_e32 v10, v16, v17
	v_sub_f32_e32 v34, v16, v17
	v_add_f32_e32 v16, v37, v18
	v_add_f32_e32 v42, v18, v19
	;; [unrolled: 1-line block ×5, first 2 shown]
	v_fma_f32 v24, -0.5, v10, v24
	v_add_f32_e32 v10, v16, v19
	v_fma_f32 v16, -0.5, v42, v37
	v_fma_f32 v17, -0.5, v46, v38
	v_mul_f32_e32 v37, v13, v30
	v_mul_f32_e32 v38, v13, v29
	;; [unrolled: 1-line block ×3, first 2 shown]
	v_fma_f32 v29, v12, v29, -v37
	v_fmac_f32_e32 v38, v12, v30
	v_fma_f32 v30, v35, v14, -v13
	v_add_f32_e32 v32, v43, v45
	v_mul_f32_e32 v15, v35, v15
	v_add_f32_e32 v13, v29, v30
	v_add_f32_e32 v31, v25, v43
	v_fmac_f32_e32 v25, -0.5, v32
	v_fmac_f32_e32 v15, v36, v14
	v_add_f32_e32 v12, v39, v29
	v_fma_f32 v39, -0.5, v13, v39
	v_sub_f32_e32 v33, v43, v45
	v_sub_f32_e32 v47, v18, v19
	v_mov_b32_e32 v18, v24
	v_mov_b32_e32 v19, v25
	v_sub_f32_e32 v13, v38, v15
	v_mov_b32_e32 v14, v39
	v_sub_f32_e32 v43, v9, v11
	v_add_f32_e32 v9, v31, v45
	v_fmac_f32_e32 v18, 0x3f5db3d7, v33
	v_fmac_f32_e32 v19, 0xbf5db3d7, v34
	;; [unrolled: 1-line block ×4, first 2 shown]
	v_add_f32_e32 v13, v40, v38
	v_add_f32_e32 v11, v44, v11
	v_fmac_f32_e32 v24, 0xbf5db3d7, v33
	v_fmac_f32_e32 v25, 0x3f5db3d7, v34
	v_mov_b32_e32 v31, v16
	v_mov_b32_e32 v32, v17
	v_add_f32_e32 v13, v13, v15
	v_add_f32_e32 v15, v38, v15
	ds_write2_b64 v27, v[8:9], v[18:19] offset1:165
	v_add_u32_e32 v8, 0x800, v27
	v_fmac_f32_e32 v16, 0xbf5db3d7, v43
	v_fmac_f32_e32 v17, 0x3f5db3d7, v47
	;; [unrolled: 1-line block ×4, first 2 shown]
	v_fmac_f32_e32 v40, -0.5, v15
	ds_write2_b64 v8, v[24:25], v[10:11] offset0:74 offset1:239
	v_add_u32_e32 v8, 0x1400, v27
	v_sub_f32_e32 v29, v29, v30
	v_mov_b32_e32 v15, v40
	ds_write2_b64 v8, v[31:32], v[16:17] offset0:20 offset1:185
	v_lshl_add_u32 v8, v41, 3, 0
	v_add_f32_e32 v12, v12, v30
	v_fmac_f32_e32 v15, 0xbf5db3d7, v29
	v_add_u32_e32 v9, 0x1e00, v8
	v_fmac_f32_e32 v40, 0x3f5db3d7, v29
	ds_write2_b64 v9, v[12:13], v[14:15] offset0:30 offset1:195
	ds_write_b64 v8, v[39:40] offset:10560
	s_waitcnt lgkmcnt(0)
	s_barrier
	s_and_saveexec_b64 s[4:5], s[0:1]
	s_cbranch_execz .LBB0_23
; %bb.22:
	v_lshlrev_b32_e32 v0, 1, v0
	v_lshlrev_b64 v[8:9], 3, v[0:1]
	v_mov_b32_e32 v18, s13
	v_add_co_u32_e32 v16, vcc, s12, v8
	v_addc_co_u32_e32 v17, vcc, v18, v9, vcc
	v_lshlrev_b32_e32 v0, 1, v28
	global_load_dwordx4 v[8:11], v[16:17], off offset:3936
	global_load_dwordx4 v[12:15], v[2:3], off offset:3936
	v_lshlrev_b64 v[2:3], 3, v[0:1]
	v_mul_lo_u32 v0, s3, v22
	v_add_co_u32_e32 v2, vcc, s12, v2
	v_addc_co_u32_e32 v3, vcc, v18, v3, vcc
	global_load_dwordx4 v[16:19], v[2:3], off offset:3936
	v_mul_lo_u32 v38, s2, v23
	v_mad_u64_u32 v[36:37], s[0:1], s2, v22, 0
	ds_read2_b64 v[22:25], v5 offset0:57 offset1:222
	ds_read2_b64 v[28:31], v6 offset0:3 offset1:168
	;; [unrolled: 1-line block ×4, first 2 shown]
	ds_read_b64 v[6:7], v27
	s_mov_b32 s0, 0x21195767
	v_add3_u32 v37, v37, v38, v0
	v_lshlrev_b64 v[20:21], 3, v[20:21]
	s_movk_i32 s1, 0x1000
	s_waitcnt vmcnt(2) lgkmcnt(4)
	v_mul_f32_e32 v0, v9, v23
	s_waitcnt lgkmcnt(3)
	v_mul_f32_e32 v27, v11, v31
	v_mul_f32_e32 v23, v8, v23
	;; [unrolled: 1-line block ×3, first 2 shown]
	s_waitcnt vmcnt(1) lgkmcnt(1)
	v_mul_f32_e32 v38, v13, v3
	v_mul_f32_e32 v39, v15, v25
	v_fma_f32 v0, v8, v22, -v0
	v_fma_f32 v8, v10, v30, -v27
	v_fmac_f32_e32 v23, v9, v22
	s_waitcnt vmcnt(0)
	v_mul_f32_e32 v10, v16, v5
	v_mul_f32_e32 v22, v18, v29
	;; [unrolled: 1-line block ×5, first 2 shown]
	v_fma_f32 v27, v12, v2, -v38
	v_fma_f32 v29, v14, v24, -v39
	v_fmac_f32_e32 v10, v17, v4
	v_fmac_f32_e32 v22, v19, v28
	;; [unrolled: 1-line block ×3, first 2 shown]
	v_mul_f32_e32 v3, v17, v5
	v_fmac_f32_e32 v40, v13, v2
	v_fmac_f32_e32 v25, v15, v24
	v_sub_f32_e32 v24, v0, v8
	v_add_f32_e32 v5, v23, v35
	v_add_f32_e32 v11, v0, v8
	;; [unrolled: 1-line block ×7, first 2 shown]
	v_sub_f32_e32 v23, v23, v31
	v_fma_f32 v12, v16, v4, -v3
	v_fma_f32 v14, v18, v28, -v9
	v_add_f32_e32 v5, v31, v5
	v_add_f32_e32 v4, v8, v0
	v_sub_f32_e32 v31, v10, v22
	s_waitcnt lgkmcnt(0)
	v_fma_f32 v8, -0.5, v13, v6
	v_fma_f32 v13, -0.5, v15, v33
	v_add_f32_e32 v15, v17, v22
	v_mul_hi_u32 v22, v26, s0
	v_sub_f32_e32 v0, v12, v14
	v_mov_b32_e32 v19, v13
	v_add_f32_e32 v9, v40, v25
	v_fma_f32 v3, -0.5, v2, v35
	v_fma_f32 v2, -0.5, v11, v34
	v_fmac_f32_e32 v13, 0xbf5db3d7, v0
	v_fmac_f32_e32 v19, 0x3f5db3d7, v0
	v_add_f32_e32 v0, v40, v7
	v_fma_f32 v9, -0.5, v9, v7
	v_mov_b32_e32 v10, v2
	v_add_f32_e32 v7, v0, v25
	v_add_f32_e32 v0, v27, v6
	v_fmac_f32_e32 v2, 0x3f5db3d7, v23
	v_fmac_f32_e32 v10, 0xbf5db3d7, v23
	v_add_f32_e32 v6, v0, v29
	v_lshrrev_b32_e32 v0, 6, v22
	v_lshlrev_b64 v[22:23], 3, v[36:37]
	v_mov_b32_e32 v11, v3
	v_fmac_f32_e32 v3, 0xbf5db3d7, v24
	v_fmac_f32_e32 v11, 0x3f5db3d7, v24
	v_mov_b32_e32 v24, s11
	v_add_co_u32_e32 v22, vcc, s10, v22
	v_mul_u32_u24_e32 v0, 0x1ef, v0
	v_addc_co_u32_e32 v23, vcc, v24, v23, vcc
	v_sub_u32_e32 v0, v26, v0
	v_add_co_u32_e32 v22, vcc, v22, v20
	v_addc_co_u32_e32 v23, vcc, v23, v21, vcc
	v_lshlrev_b32_e32 v0, 3, v0
	v_sub_f32_e32 v30, v40, v25
	v_add_f32_e32 v16, v12, v14
	v_add_co_u32_e32 v20, vcc, v22, v0
	v_sub_f32_e32 v28, v27, v29
	v_add_f32_e32 v18, v12, v32
	v_fma_f32 v12, -0.5, v16, v32
	v_mov_b32_e32 v16, v8
	v_fmac_f32_e32 v8, 0x3f5db3d7, v30
	v_addc_co_u32_e32 v21, vcc, 0, v23, vcc
	v_add_u32_e32 v0, 0xa5, v26
	v_mov_b32_e32 v17, v9
	v_fmac_f32_e32 v9, 0xbf5db3d7, v28
	global_store_dwordx2 v[20:21], v[6:7], off
	global_store_dwordx2 v[20:21], v[8:9], off offset:3960
	v_mul_hi_u32 v8, v0, s0
	v_add_co_u32_e32 v6, vcc, s1, v20
	v_fmac_f32_e32 v17, 0x3f5db3d7, v28
	v_fmac_f32_e32 v16, 0xbf5db3d7, v30
	v_addc_co_u32_e32 v7, vcc, 0, v21, vcc
	global_store_dwordx2 v[6:7], v[16:17], off offset:3824
	v_lshrrev_b32_e32 v6, 6, v8
	v_mul_u32_u24_e32 v7, 0x1ef, v6
	v_sub_u32_e32 v0, v0, v7
	s_movk_i32 s1, 0x5cd
	v_mad_u32_u24 v0, v6, s1, v0
	v_lshlrev_b64 v[6:7], 3, v[0:1]
	v_add_f32_e32 v14, v18, v14
	v_add_co_u32_e32 v6, vcc, v22, v6
	v_addc_co_u32_e32 v7, vcc, v23, v7, vcc
	global_store_dwordx2 v[6:7], v[14:15], off
	v_add_u32_e32 v6, 0x1ef, v0
	v_mov_b32_e32 v7, v1
	v_lshlrev_b64 v[6:7], 3, v[6:7]
	v_mov_b32_e32 v18, v12
	v_add_co_u32_e32 v6, vcc, v22, v6
	v_fmac_f32_e32 v12, 0x3f5db3d7, v31
	v_addc_co_u32_e32 v7, vcc, v23, v7, vcc
	v_add_u32_e32 v0, 0x3de, v0
	global_store_dwordx2 v[6:7], v[12:13], off
	v_lshlrev_b64 v[6:7], 3, v[0:1]
	v_add_u32_e32 v0, 0x14a, v26
	v_mul_hi_u32 v8, v0, s0
	v_add_co_u32_e32 v6, vcc, v22, v6
	v_fmac_f32_e32 v18, 0xbf5db3d7, v31
	v_addc_co_u32_e32 v7, vcc, v23, v7, vcc
	global_store_dwordx2 v[6:7], v[18:19], off
	v_lshrrev_b32_e32 v6, 6, v8
	v_mul_u32_u24_e32 v7, 0x1ef, v6
	v_sub_u32_e32 v0, v0, v7
	v_mad_u32_u24 v0, v6, s1, v0
	v_lshlrev_b64 v[6:7], 3, v[0:1]
	v_add_co_u32_e32 v6, vcc, v22, v6
	v_addc_co_u32_e32 v7, vcc, v23, v7, vcc
	global_store_dwordx2 v[6:7], v[4:5], off
	v_add_u32_e32 v4, 0x1ef, v0
	v_mov_b32_e32 v5, v1
	v_lshlrev_b64 v[4:5], 3, v[4:5]
	v_add_u32_e32 v0, 0x3de, v0
	v_add_co_u32_e32 v4, vcc, v22, v4
	v_lshlrev_b64 v[0:1], 3, v[0:1]
	v_addc_co_u32_e32 v5, vcc, v23, v5, vcc
	v_add_co_u32_e32 v0, vcc, v22, v0
	v_addc_co_u32_e32 v1, vcc, v23, v1, vcc
	global_store_dwordx2 v[4:5], v[2:3], off
	global_store_dwordx2 v[0:1], v[10:11], off
.LBB0_23:
	s_endpgm
	.section	.rodata,"a",@progbits
	.p2align	6, 0x0
	.amdhsa_kernel fft_rtc_fwd_len1485_factors_3_5_11_3_3_wgs_165_tpt_165_sp_op_CI_CI_unitstride_sbrr_dirReg
		.amdhsa_group_segment_fixed_size 0
		.amdhsa_private_segment_fixed_size 0
		.amdhsa_kernarg_size 104
		.amdhsa_user_sgpr_count 6
		.amdhsa_user_sgpr_private_segment_buffer 1
		.amdhsa_user_sgpr_dispatch_ptr 0
		.amdhsa_user_sgpr_queue_ptr 0
		.amdhsa_user_sgpr_kernarg_segment_ptr 1
		.amdhsa_user_sgpr_dispatch_id 0
		.amdhsa_user_sgpr_flat_scratch_init 0
		.amdhsa_user_sgpr_private_segment_size 0
		.amdhsa_uses_dynamic_stack 0
		.amdhsa_system_sgpr_private_segment_wavefront_offset 0
		.amdhsa_system_sgpr_workgroup_id_x 1
		.amdhsa_system_sgpr_workgroup_id_y 0
		.amdhsa_system_sgpr_workgroup_id_z 0
		.amdhsa_system_sgpr_workgroup_info 0
		.amdhsa_system_vgpr_workitem_id 0
		.amdhsa_next_free_vgpr 98
		.amdhsa_next_free_sgpr 28
		.amdhsa_reserve_vcc 1
		.amdhsa_reserve_flat_scratch 0
		.amdhsa_float_round_mode_32 0
		.amdhsa_float_round_mode_16_64 0
		.amdhsa_float_denorm_mode_32 3
		.amdhsa_float_denorm_mode_16_64 3
		.amdhsa_dx10_clamp 1
		.amdhsa_ieee_mode 1
		.amdhsa_fp16_overflow 0
		.amdhsa_exception_fp_ieee_invalid_op 0
		.amdhsa_exception_fp_denorm_src 0
		.amdhsa_exception_fp_ieee_div_zero 0
		.amdhsa_exception_fp_ieee_overflow 0
		.amdhsa_exception_fp_ieee_underflow 0
		.amdhsa_exception_fp_ieee_inexact 0
		.amdhsa_exception_int_div_zero 0
	.end_amdhsa_kernel
	.text
.Lfunc_end0:
	.size	fft_rtc_fwd_len1485_factors_3_5_11_3_3_wgs_165_tpt_165_sp_op_CI_CI_unitstride_sbrr_dirReg, .Lfunc_end0-fft_rtc_fwd_len1485_factors_3_5_11_3_3_wgs_165_tpt_165_sp_op_CI_CI_unitstride_sbrr_dirReg
                                        ; -- End function
	.section	.AMDGPU.csdata,"",@progbits
; Kernel info:
; codeLenInByte = 6932
; NumSgprs: 32
; NumVgprs: 98
; ScratchSize: 0
; MemoryBound: 0
; FloatMode: 240
; IeeeMode: 1
; LDSByteSize: 0 bytes/workgroup (compile time only)
; SGPRBlocks: 3
; VGPRBlocks: 24
; NumSGPRsForWavesPerEU: 32
; NumVGPRsForWavesPerEU: 98
; Occupancy: 2
; WaveLimiterHint : 1
; COMPUTE_PGM_RSRC2:SCRATCH_EN: 0
; COMPUTE_PGM_RSRC2:USER_SGPR: 6
; COMPUTE_PGM_RSRC2:TRAP_HANDLER: 0
; COMPUTE_PGM_RSRC2:TGID_X_EN: 1
; COMPUTE_PGM_RSRC2:TGID_Y_EN: 0
; COMPUTE_PGM_RSRC2:TGID_Z_EN: 0
; COMPUTE_PGM_RSRC2:TIDIG_COMP_CNT: 0
	.type	__hip_cuid_38f00da6ed9c349,@object ; @__hip_cuid_38f00da6ed9c349
	.section	.bss,"aw",@nobits
	.globl	__hip_cuid_38f00da6ed9c349
__hip_cuid_38f00da6ed9c349:
	.byte	0                               ; 0x0
	.size	__hip_cuid_38f00da6ed9c349, 1

	.ident	"AMD clang version 19.0.0git (https://github.com/RadeonOpenCompute/llvm-project roc-6.4.0 25133 c7fe45cf4b819c5991fe208aaa96edf142730f1d)"
	.section	".note.GNU-stack","",@progbits
	.addrsig
	.addrsig_sym __hip_cuid_38f00da6ed9c349
	.amdgpu_metadata
---
amdhsa.kernels:
  - .args:
      - .actual_access:  read_only
        .address_space:  global
        .offset:         0
        .size:           8
        .value_kind:     global_buffer
      - .offset:         8
        .size:           8
        .value_kind:     by_value
      - .actual_access:  read_only
        .address_space:  global
        .offset:         16
        .size:           8
        .value_kind:     global_buffer
      - .actual_access:  read_only
        .address_space:  global
        .offset:         24
        .size:           8
        .value_kind:     global_buffer
      - .actual_access:  read_only
        .address_space:  global
        .offset:         32
        .size:           8
        .value_kind:     global_buffer
      - .offset:         40
        .size:           8
        .value_kind:     by_value
      - .actual_access:  read_only
        .address_space:  global
        .offset:         48
        .size:           8
        .value_kind:     global_buffer
      - .actual_access:  read_only
        .address_space:  global
        .offset:         56
        .size:           8
        .value_kind:     global_buffer
      - .offset:         64
        .size:           4
        .value_kind:     by_value
      - .actual_access:  read_only
        .address_space:  global
        .offset:         72
        .size:           8
        .value_kind:     global_buffer
      - .actual_access:  read_only
        .address_space:  global
        .offset:         80
        .size:           8
        .value_kind:     global_buffer
      - .actual_access:  read_only
        .address_space:  global
        .offset:         88
        .size:           8
        .value_kind:     global_buffer
      - .actual_access:  write_only
        .address_space:  global
        .offset:         96
        .size:           8
        .value_kind:     global_buffer
    .group_segment_fixed_size: 0
    .kernarg_segment_align: 8
    .kernarg_segment_size: 104
    .language:       OpenCL C
    .language_version:
      - 2
      - 0
    .max_flat_workgroup_size: 165
    .name:           fft_rtc_fwd_len1485_factors_3_5_11_3_3_wgs_165_tpt_165_sp_op_CI_CI_unitstride_sbrr_dirReg
    .private_segment_fixed_size: 0
    .sgpr_count:     32
    .sgpr_spill_count: 0
    .symbol:         fft_rtc_fwd_len1485_factors_3_5_11_3_3_wgs_165_tpt_165_sp_op_CI_CI_unitstride_sbrr_dirReg.kd
    .uniform_work_group_size: 1
    .uses_dynamic_stack: false
    .vgpr_count:     98
    .vgpr_spill_count: 0
    .wavefront_size: 64
amdhsa.target:   amdgcn-amd-amdhsa--gfx906
amdhsa.version:
  - 1
  - 2
...

	.end_amdgpu_metadata
